;; amdgpu-corpus repo=ROCm/rocFFT kind=compiled arch=gfx906 opt=O3
	.text
	.amdgcn_target "amdgcn-amd-amdhsa--gfx906"
	.amdhsa_code_object_version 6
	.protected	bluestein_single_back_len1050_dim1_sp_op_CI_CI ; -- Begin function bluestein_single_back_len1050_dim1_sp_op_CI_CI
	.globl	bluestein_single_back_len1050_dim1_sp_op_CI_CI
	.p2align	8
	.type	bluestein_single_back_len1050_dim1_sp_op_CI_CI,@function
bluestein_single_back_len1050_dim1_sp_op_CI_CI: ; @bluestein_single_back_len1050_dim1_sp_op_CI_CI
; %bb.0:
	s_load_dwordx4 s[8:11], s[4:5], 0x28
	v_mul_u32_u24_e32 v1, 0x139, v0
	v_add_u32_sdwa v46, s6, v1 dst_sel:DWORD dst_unused:UNUSED_PAD src0_sel:DWORD src1_sel:WORD_1
	v_mov_b32_e32 v47, 0
	s_waitcnt lgkmcnt(0)
	v_cmp_gt_u64_e32 vcc, s[8:9], v[46:47]
	s_and_saveexec_b64 s[0:1], vcc
	s_cbranch_execz .LBB0_31
; %bb.1:
	s_load_dwordx4 s[0:3], s[4:5], 0x18
	s_load_dwordx2 s[16:17], s[4:5], 0x0
	s_waitcnt lgkmcnt(0)
	s_load_dwordx4 s[12:15], s[0:1], 0x0
	s_movk_i32 s0, 0xd2
	v_mul_lo_u16_sdwa v1, v1, s0 dst_sel:DWORD dst_unused:UNUSED_PAD src0_sel:WORD_1 src1_sel:DWORD
	v_sub_u16_e32 v60, v0, v1
	v_lshlrev_b32_e32 v59, 3, v60
	s_waitcnt lgkmcnt(0)
	v_mad_u64_u32 v[0:1], s[0:1], s14, v46, 0
	v_mad_u64_u32 v[2:3], s[0:1], s12, v60, 0
	v_add_co_u32_e64 v44, s[8:9], s16, v59
	v_mad_u64_u32 v[4:5], s[0:1], s15, v46, v[1:2]
	global_load_dwordx2 v[53:54], v59, s[16:17]
	v_mad_u64_u32 v[5:6], s[0:1], s13, v60, v[3:4]
	v_mov_b32_e32 v1, v4
	v_lshlrev_b64 v[0:1], 3, v[0:1]
	v_mov_b32_e32 v6, s11
	v_mov_b32_e32 v3, v5
	v_add_co_u32_e32 v4, vcc, s10, v0
	v_addc_co_u32_e32 v5, vcc, v6, v1, vcc
	v_lshlrev_b64 v[0:1], 3, v[2:3]
	s_mul_i32 s0, s13, 0x20d
	s_mul_hi_u32 s1, s12, 0x20d
	v_add_co_u32_e32 v0, vcc, v4, v0
	v_mov_b32_e32 v2, s17
	s_add_i32 s1, s1, s0
	s_mul_i32 s0, s12, 0x20d
	v_addc_co_u32_e32 v1, vcc, v5, v1, vcc
	v_addc_co_u32_e64 v45, vcc, 0, v2, s[8:9]
	s_lshl_b64 s[6:7], s[0:1], 3
	v_mov_b32_e32 v10, s7
	v_add_co_u32_e32 v2, vcc, s6, v0
	v_addc_co_u32_e32 v3, vcc, v1, v10, vcc
	s_movk_i32 s0, 0x1000
	s_mul_hi_u32 s1, s12, 0xfffffec5
	v_add_co_u32_e32 v8, vcc, s0, v44
	s_mul_i32 s0, s13, 0xfffffec5
	s_sub_i32 s1, s1, s12
	s_add_i32 s1, s1, s0
	s_mul_i32 s0, s12, 0xfffffec5
	v_addc_co_u32_e32 v9, vcc, 0, v45, vcc
	s_lshl_b64 s[18:19], s[0:1], 3
	global_load_dwordx2 v[4:5], v[0:1], off
	global_load_dwordx2 v[6:7], v[2:3], off
	v_mov_b32_e32 v1, s19
	v_add_co_u32_e32 v0, vcc, s18, v2
	global_load_dwordx2 v[51:52], v[8:9], off offset:104
	v_addc_co_u32_e32 v1, vcc, v3, v1, vcc
	global_load_dwordx2 v[2:3], v[0:1], off
	global_load_dwordx2 v[49:50], v59, s[16:17] offset:1680
	v_add_co_u32_e32 v0, vcc, s6, v0
	v_addc_co_u32_e32 v1, vcc, v1, v10, vcc
	global_load_dwordx2 v[47:48], v[8:9], off offset:1784
	global_load_dwordx2 v[10:11], v[0:1], off
	s_load_dwordx2 s[10:11], s[4:5], 0x38
	s_load_dwordx4 s[12:15], s[2:3], 0x0
	s_movk_i32 s0, 0x69
	v_cmp_gt_u16_e64 s[0:1], s0, v60
	s_waitcnt vmcnt(6)
	v_mul_f32_e32 v8, v5, v54
	v_mul_f32_e32 v9, v4, v54
	v_fmac_f32_e32 v8, v4, v53
	v_fma_f32 v9, v5, v53, -v9
	s_waitcnt vmcnt(4)
	v_mul_f32_e32 v4, v7, v52
	v_mul_f32_e32 v5, v6, v52
	v_fmac_f32_e32 v4, v6, v51
	v_fma_f32 v5, v7, v51, -v5
	;; [unrolled: 5-line block ×4, first 2 shown]
	ds_write_b64 v59, v[4:5] offset:4200
	ds_write2_b64 v59, v[8:9], v[6:7] offset1:210
	ds_write_b64 v59, v[2:3] offset:5880
	s_and_saveexec_b64 s[2:3], s[0:1]
	s_cbranch_execz .LBB0_3
; %bb.2:
	v_mov_b32_e32 v2, s19
	v_add_co_u32_e32 v0, vcc, s18, v0
	v_addc_co_u32_e32 v1, vcc, v1, v2, vcc
	global_load_dwordx2 v[2:3], v[0:1], off
	global_load_dwordx2 v[4:5], v[44:45], off offset:3360
	v_mov_b32_e32 v6, s7
	v_add_co_u32_e32 v0, vcc, s6, v0
	v_addc_co_u32_e32 v1, vcc, v1, v6, vcc
	v_add_co_u32_e32 v6, vcc, 0x1000, v44
	v_addc_co_u32_e32 v7, vcc, 0, v45, vcc
	global_load_dwordx2 v[8:9], v[6:7], off offset:3464
	global_load_dwordx2 v[10:11], v[0:1], off
	s_waitcnt vmcnt(2)
	v_mul_f32_e32 v0, v3, v5
	v_mul_f32_e32 v1, v2, v5
	v_fmac_f32_e32 v0, v2, v4
	v_fma_f32 v1, v3, v4, -v1
	ds_write_b64 v59, v[0:1] offset:3360
	s_waitcnt vmcnt(0)
	v_mul_f32_e32 v2, v11, v9
	v_mul_f32_e32 v3, v10, v9
	v_fmac_f32_e32 v2, v10, v8
	v_fma_f32 v3, v11, v8, -v3
	ds_write_b64 v59, v[2:3] offset:7560
.LBB0_3:
	s_or_b64 exec, exec, s[2:3]
	v_add_u32_e32 v4, 0x1000, v59
	s_waitcnt lgkmcnt(0)
	s_barrier
	ds_read2_b64 v[0:3], v59 offset1:210
	ds_read2_b64 v[4:7], v4 offset0:13 offset1:223
                                        ; implicit-def: $vgpr8
                                        ; implicit-def: $vgpr10
	s_and_saveexec_b64 s[2:3], s[0:1]
	s_cbranch_execz .LBB0_5
; %bb.4:
	ds_read_b64 v[10:11], v59 offset:3360
	ds_read_b64 v[8:9], v59 offset:7560
.LBB0_5:
	s_or_b64 exec, exec, s[2:3]
	s_load_dwordx2 s[4:5], s[4:5], 0x8
	s_movk_i32 s2, 0x1a4
	s_waitcnt lgkmcnt(0)
	v_sub_f32_e32 v14, v0, v4
	v_add_co_u32_e32 v16, vcc, 0xd2, v60
	v_add_co_u32_e32 v17, vcc, s2, v60
	v_sub_f32_e32 v15, v1, v5
	v_fma_f32 v12, v0, 2.0, -v14
	v_sub_f32_e32 v4, v2, v6
	v_sub_f32_e32 v5, v3, v7
	;; [unrolled: 1-line block ×4, first 2 shown]
	v_lshlrev_b16_e32 v0, 1, v60
	v_fma_f32 v13, v1, 2.0, -v15
	v_fma_f32 v2, v2, 2.0, -v4
	;; [unrolled: 1-line block ×5, first 2 shown]
	v_lshlrev_b32_e32 v63, 3, v0
	v_lshlrev_b32_e32 v64, 4, v16
	;; [unrolled: 1-line block ×3, first 2 shown]
	s_barrier
	ds_write_b128 v63, v[12:15]
	ds_write_b128 v64, v[2:5]
	s_and_saveexec_b64 s[2:3], s[0:1]
	s_cbranch_execz .LBB0_7
; %bb.6:
	ds_write_b128 v62, v[6:9]
.LBB0_7:
	s_or_b64 exec, exec, s[2:3]
	s_waitcnt lgkmcnt(0)
	s_barrier
	ds_read_b64 v[10:11], v59
	ds_read_b64 v[14:15], v59 offset:2800
	ds_read_b64 v[12:13], v59 offset:5600
	s_movk_i32 s2, 0x8c
	v_cmp_gt_u16_e64 s[2:3], s2, v60
	s_and_saveexec_b64 s[6:7], s[2:3]
	s_cbranch_execz .LBB0_9
; %bb.8:
	ds_read_b64 v[4:5], v59 offset:1680
	ds_read_b64 v[6:7], v59 offset:4480
	;; [unrolled: 1-line block ×3, first 2 shown]
.LBB0_9:
	s_or_b64 exec, exec, s[6:7]
	v_and_b32_e32 v61, 1, v60
	v_lshlrev_b32_e32 v0, 4, v61
	global_load_dwordx4 v[0:3], v0, s[4:5]
	v_lshrrev_b32_e32 v17, 1, v60
	v_mul_u32_u24_e32 v17, 6, v17
	v_or_b32_e32 v17, v17, v61
	v_lshlrev_b32_e32 v65, 3, v17
	v_lshrrev_b32_e32 v66, 1, v16
	s_waitcnt vmcnt(0) lgkmcnt(0)
	s_barrier
	v_mul_f32_e32 v19, v15, v1
	v_mul_f32_e32 v23, v7, v1
	;; [unrolled: 1-line block ×8, first 2 shown]
	v_fma_f32 v14, v14, v0, -v19
	v_fma_f32 v6, v6, v0, -v23
	v_fmac_f32_e32 v17, v7, v0
	v_fma_f32 v7, v8, v2, -v24
	v_fmac_f32_e32 v18, v9, v2
	v_fmac_f32_e32 v20, v15, v0
	v_fma_f32 v12, v12, v2, -v21
	v_fmac_f32_e32 v22, v13, v2
	v_add_f32_e32 v13, v10, v14
	v_add_f32_e32 v24, v6, v7
	;; [unrolled: 1-line block ×4, first 2 shown]
	v_sub_f32_e32 v21, v20, v22
	v_add_f32_e32 v19, v11, v20
	v_add_f32_e32 v20, v20, v22
	v_sub_f32_e32 v23, v14, v12
	v_add_f32_e32 v14, v13, v12
	v_fma_f32 v12, -0.5, v24, v4
	v_fma_f32 v13, -0.5, v25, v5
	v_sub_f32_e32 v8, v17, v18
	v_sub_f32_e32 v9, v6, v7
	v_fma_f32 v10, -0.5, v15, v10
	v_fmac_f32_e32 v11, -0.5, v20
	v_mov_b32_e32 v34, v12
	v_mov_b32_e32 v35, v13
	v_add_f32_e32 v15, v19, v22
	v_mov_b32_e32 v19, v10
	v_fmac_f32_e32 v10, 0xbf5db3d7, v21
	v_mov_b32_e32 v20, v11
	v_fmac_f32_e32 v11, 0x3f5db3d7, v23
	v_fmac_f32_e32 v34, 0xbf5db3d7, v8
	;; [unrolled: 1-line block ×5, first 2 shown]
	ds_write_b64 v65, v[10:11] offset:32
	ds_write2_b64 v65, v[14:15], v[19:20] offset1:2
	s_and_saveexec_b64 s[6:7], s[2:3]
	s_cbranch_execz .LBB0_11
; %bb.10:
	v_add_f32_e32 v4, v4, v6
	v_mul_u32_u24_e32 v6, 6, v66
	v_mul_f32_e32 v8, 0x3f5db3d7, v8
	v_mul_f32_e32 v9, 0x3f5db3d7, v9
	v_add_f32_e32 v5, v5, v17
	v_or_b32_e32 v6, v6, v61
	v_sub_f32_e32 v9, v13, v9
	v_add_f32_e32 v8, v8, v12
	v_add_f32_e32 v5, v5, v18
	;; [unrolled: 1-line block ×3, first 2 shown]
	v_lshlrev_b32_e32 v6, 3, v6
	ds_write2_b64 v6, v[4:5], v[8:9] offset1:2
	ds_write_b64 v6, v[34:35] offset:32
.LBB0_11:
	s_or_b64 exec, exec, s[6:7]
	s_movk_i32 s6, 0xab
	v_mul_lo_u16_sdwa v4, v60, s6 dst_sel:DWORD dst_unused:UNUSED_PAD src0_sel:BYTE_0 src1_sel:DWORD
	v_lshrrev_b16_e32 v22, 10, v4
	v_mul_lo_u16_e32 v4, 6, v22
	v_sub_u16_e32 v4, v60, v4
	v_and_b32_e32 v23, 0xff, v4
	v_lshlrev_b32_e32 v12, 5, v23
	s_waitcnt lgkmcnt(0)
	s_barrier
	global_load_dwordx4 v[8:11], v12, s[4:5] offset:32
	global_load_dwordx4 v[4:7], v12, s[4:5] offset:48
	ds_read2_b64 v[12:15], v59 offset1:210
	v_add_u32_e32 v24, 0xc00, v59
	ds_read_b64 v[20:21], v59 offset:6720
	ds_read2_b64 v[16:19], v24 offset0:36 offset1:246
	v_mul_u32_u24_e32 v22, 30, v22
	v_add_lshl_u32 v67, v22, v23, 3
	s_movk_i32 s6, 0x89
	s_waitcnt vmcnt(0) lgkmcnt(0)
	s_barrier
	v_mul_f32_e32 v25, v15, v9
	v_mul_f32_e32 v26, v14, v9
	;; [unrolled: 1-line block ×8, first 2 shown]
	v_fma_f32 v14, v14, v8, -v25
	v_fmac_f32_e32 v26, v15, v8
	v_fma_f32 v15, v16, v10, -v27
	v_fmac_f32_e32 v28, v17, v10
	;; [unrolled: 2-line block ×4, first 2 shown]
	v_add_f32_e32 v17, v12, v14
	v_add_f32_e32 v18, v15, v16
	;; [unrolled: 1-line block ×3, first 2 shown]
	v_sub_f32_e32 v19, v14, v15
	v_sub_f32_e32 v21, v20, v16
	v_add_f32_e32 v29, v14, v20
	v_sub_f32_e32 v31, v15, v14
	v_add_f32_e32 v36, v13, v26
	v_sub_f32_e32 v38, v14, v20
	v_sub_f32_e32 v39, v15, v16
	v_add_f32_e32 v42, v26, v32
	v_add_f32_e32 v17, v17, v15
	v_fma_f32 v14, -0.5, v18, v12
	v_fma_f32 v15, -0.5, v37, v13
	v_sub_f32_e32 v25, v26, v32
	v_sub_f32_e32 v27, v28, v30
	;; [unrolled: 1-line block ×3, first 2 shown]
	v_add_f32_e32 v55, v19, v21
	v_fma_f32 v12, -0.5, v29, v12
	v_add_f32_e32 v19, v36, v28
	v_fma_f32 v13, -0.5, v42, v13
	v_add_f32_e32 v21, v17, v16
	v_mov_b32_e32 v16, v14
	v_mov_b32_e32 v17, v15
	v_sub_f32_e32 v40, v26, v28
	v_sub_f32_e32 v41, v32, v30
	;; [unrolled: 1-line block ×3, first 2 shown]
	v_mov_b32_e32 v18, v12
	v_fmac_f32_e32 v12, 0x3f737871, v27
	v_add_f32_e32 v30, v19, v30
	v_mov_b32_e32 v19, v13
	v_fmac_f32_e32 v16, 0x3f737871, v25
	v_fmac_f32_e32 v17, 0xbf737871, v38
	v_sub_f32_e32 v26, v28, v26
	v_add_f32_e32 v29, v31, v33
	v_add_f32_e32 v28, v40, v41
	v_fmac_f32_e32 v14, 0xbf737871, v25
	v_fmac_f32_e32 v15, 0x3f737871, v38
	;; [unrolled: 1-line block ×8, first 2 shown]
	v_add_f32_e32 v26, v26, v43
	v_add_f32_e32 v20, v21, v20
	v_fmac_f32_e32 v14, 0xbf167918, v27
	v_add_f32_e32 v21, v30, v32
	v_fmac_f32_e32 v15, 0x3f167918, v39
	v_fmac_f32_e32 v13, 0x3f167918, v38
	;; [unrolled: 1-line block ×12, first 2 shown]
	ds_write2_b64 v67, v[20:21], v[16:17] offset1:6
	ds_write2_b64 v67, v[18:19], v[12:13] offset0:12 offset1:18
	ds_write_b64 v67, v[14:15] offset:192
	v_mul_lo_u16_sdwa v12, v60, s6 dst_sel:DWORD dst_unused:UNUSED_PAD src0_sel:BYTE_0 src1_sel:DWORD
	v_lshrrev_b16_e32 v30, 12, v12
	v_mul_lo_u16_e32 v12, 30, v30
	v_sub_u16_e32 v12, v60, v12
	v_and_b32_e32 v31, 0xff, v12
	v_lshlrev_b32_e32 v20, 5, v31
	s_waitcnt lgkmcnt(0)
	s_barrier
	global_load_dwordx4 v[16:19], v20, s[4:5] offset:224
	global_load_dwordx4 v[12:15], v20, s[4:5] offset:240
	ds_read2_b64 v[20:23], v59 offset1:210
	ds_read2_b64 v[24:27], v24 offset0:36 offset1:246
	ds_read_b64 v[28:29], v59 offset:6720
	s_movk_i32 s6, 0x96
	v_cmp_gt_u16_e64 s[6:7], s6, v60
	s_waitcnt vmcnt(0) lgkmcnt(0)
	s_barrier
	v_mul_f32_e32 v32, v23, v17
	v_mul_f32_e32 v56, v24, v19
	;; [unrolled: 1-line block ×6, first 2 shown]
	v_fma_f32 v22, v22, v16, -v32
	v_fmac_f32_e32 v56, v25, v18
	v_fma_f32 v25, v28, v14, -v37
	v_mul_f32_e32 v57, v26, v13
	v_mul_f32_e32 v58, v28, v15
	v_fmac_f32_e32 v55, v23, v16
	v_fma_f32 v23, v24, v18, -v33
	v_fma_f32 v24, v26, v12, -v36
	v_add_f32_e32 v37, v22, v25
	v_fmac_f32_e32 v57, v27, v12
	v_fmac_f32_e32 v58, v29, v14
	v_add_f32_e32 v27, v23, v24
	v_add_f32_e32 v40, v21, v55
	v_fma_f32 v42, -0.5, v37, v20
	v_add_f32_e32 v26, v20, v22
	v_sub_f32_e32 v29, v56, v57
	v_sub_f32_e32 v43, v55, v56
	v_sub_f32_e32 v69, v58, v57
	v_add_f32_e32 v70, v55, v58
	v_fma_f32 v32, -0.5, v27, v20
	v_add_f32_e32 v27, v40, v56
	v_mov_b32_e32 v40, v42
	v_sub_f32_e32 v28, v55, v58
	v_sub_f32_e32 v33, v22, v23
	;; [unrolled: 1-line block ×5, first 2 shown]
	v_add_f32_e32 v41, v56, v57
	v_sub_f32_e32 v68, v23, v24
	v_add_f32_e32 v23, v26, v23
	v_add_f32_e32 v69, v43, v69
	v_fma_f32 v43, -0.5, v70, v21
	v_fmac_f32_e32 v42, 0x3f737871, v29
	v_fmac_f32_e32 v40, 0xbf737871, v29
	v_add_f32_e32 v26, v33, v36
	v_add_f32_e32 v20, v38, v39
	v_fma_f32 v33, -0.5, v41, v21
	v_add_f32_e32 v21, v23, v24
	v_mov_b32_e32 v41, v43
	v_fmac_f32_e32 v42, 0xbf167918, v28
	v_fmac_f32_e32 v40, 0x3f167918, v28
	v_sub_f32_e32 v22, v22, v25
	v_mov_b32_e32 v38, v32
	v_mov_b32_e32 v39, v33
	v_add_f32_e32 v36, v21, v25
	v_fmac_f32_e32 v41, 0x3f737871, v68
	v_fmac_f32_e32 v42, 0x3e9e377a, v20
	v_fmac_f32_e32 v40, 0x3e9e377a, v20
	v_sub_f32_e32 v20, v56, v55
	v_sub_f32_e32 v21, v57, v58
	v_fmac_f32_e32 v43, 0xbf737871, v68
	v_fmac_f32_e32 v32, 0xbf737871, v28
	;; [unrolled: 1-line block ×6, first 2 shown]
	v_add_f32_e32 v20, v20, v21
	v_fmac_f32_e32 v43, 0x3f167918, v22
	v_add_f32_e32 v23, v27, v57
	v_fmac_f32_e32 v32, 0xbf167918, v29
	v_fmac_f32_e32 v33, 0x3f167918, v68
	;; [unrolled: 1-line block ×6, first 2 shown]
	v_mul_u32_u24_e32 v20, 0x96, v30
	v_add_f32_e32 v37, v23, v58
	v_fmac_f32_e32 v32, 0x3e9e377a, v26
	v_fmac_f32_e32 v33, 0x3e9e377a, v69
	v_fmac_f32_e32 v38, 0x3e9e377a, v26
	v_fmac_f32_e32 v39, 0x3e9e377a, v69
	v_add_lshl_u32 v68, v20, v31, 3
	ds_write2_b64 v68, v[36:37], v[38:39] offset1:30
	ds_write2_b64 v68, v[40:41], v[42:43] offset0:60 offset1:90
	ds_write_b64 v68, v[32:33] offset:960
	s_waitcnt lgkmcnt(0)
	s_barrier
	s_waitcnt lgkmcnt(0)
                                        ; implicit-def: $vgpr55
	s_and_saveexec_b64 s[18:19], s[6:7]
	s_cbranch_execz .LBB0_13
; %bb.12:
	v_add_u32_e32 v20, 0x800, v59
	ds_read2_b64 v[40:43], v20 offset0:44 offset1:194
	v_add_u32_e32 v20, 0x1000, v59
	ds_read2_b64 v[36:39], v59 offset1:150
	ds_read2_b64 v[32:35], v20 offset0:88 offset1:238
	ds_read_b64 v[55:56], v59 offset:7200
.LBB0_13:
	s_or_b64 exec, exec, s[18:19]
	v_add_u32_e32 v20, 0xffffff6a, v60
	v_cndmask_b32_e64 v20, v20, v60, s[6:7]
	v_mul_hi_i32_i24_e32 v21, 48, v20
	v_mul_i32_i24_e32 v20, 48, v20
	v_mov_b32_e32 v22, s5
	v_add_co_u32_e32 v57, vcc, s4, v20
	v_addc_co_u32_e32 v58, vcc, v22, v21, vcc
	global_load_dwordx4 v[20:23], v[57:58], off offset:1184
	global_load_dwordx4 v[28:31], v[57:58], off offset:1200
	;; [unrolled: 1-line block ×3, first 2 shown]
	s_mov_b32 s4, 0x3f5ff5aa
	s_mov_b32 s16, 0xbf3bfb3b
	;; [unrolled: 1-line block ×3, first 2 shown]
	s_waitcnt vmcnt(2) lgkmcnt(2)
	v_mul_f32_e32 v57, v39, v21
	v_mul_f32_e32 v58, v38, v21
	;; [unrolled: 1-line block ×4, first 2 shown]
	s_waitcnt vmcnt(1) lgkmcnt(1)
	v_mul_f32_e32 v74, v32, v31
	s_waitcnt vmcnt(0)
	v_mul_f32_e32 v75, v35, v25
	v_mul_f32_e32 v76, v34, v25
	s_waitcnt lgkmcnt(0)
	v_mul_f32_e32 v77, v56, v27
	v_mul_f32_e32 v78, v55, v27
	;; [unrolled: 1-line block ×5, first 2 shown]
	v_fma_f32 v38, v38, v20, -v57
	v_fmac_f32_e32 v58, v39, v20
	v_fma_f32 v39, v40, v22, -v69
	v_fmac_f32_e32 v70, v41, v22
	v_fmac_f32_e32 v74, v33, v30
	v_fma_f32 v33, v34, v24, -v75
	v_fmac_f32_e32 v76, v35, v24
	v_fma_f32 v34, v55, v26, -v77
	;; [unrolled: 2-line block ×4, first 2 shown]
	v_add_f32_e32 v35, v38, v34
	v_add_f32_e32 v41, v58, v78
	;; [unrolled: 1-line block ×4, first 2 shown]
	v_sub_f32_e32 v34, v38, v34
	v_sub_f32_e32 v38, v58, v78
	;; [unrolled: 1-line block ×4, first 2 shown]
	v_add_f32_e32 v55, v40, v32
	v_add_f32_e32 v56, v72, v74
	v_sub_f32_e32 v32, v32, v40
	v_sub_f32_e32 v40, v74, v72
	v_add_f32_e32 v57, v42, v35
	v_add_f32_e32 v58, v43, v41
	v_sub_f32_e32 v69, v42, v35
	v_sub_f32_e32 v70, v43, v41
	;; [unrolled: 1-line block ×6, first 2 shown]
	v_add_f32_e32 v71, v32, v33
	v_add_f32_e32 v72, v40, v39
	v_sub_f32_e32 v73, v32, v33
	v_sub_f32_e32 v74, v40, v39
	v_add_f32_e32 v55, v55, v57
	v_add_f32_e32 v56, v56, v58
	v_sub_f32_e32 v75, v34, v32
	v_sub_f32_e32 v40, v38, v40
	;; [unrolled: 1-line block ×4, first 2 shown]
	v_add_f32_e32 v57, v71, v34
	v_add_f32_e32 v58, v72, v38
	v_mul_f32_e32 v38, 0x3f4a47b2, v35
	v_mul_f32_e32 v41, 0x3f4a47b2, v41
	;; [unrolled: 1-line block ×4, first 2 shown]
	v_add_f32_e32 v32, v36, v55
	v_add_f32_e32 v33, v37, v56
	v_mul_f32_e32 v71, 0x3d64c772, v42
	v_mul_f32_e32 v72, 0x3d64c772, v43
	;; [unrolled: 1-line block ×4, first 2 shown]
	v_fma_f32 v77, v69, s16, -v38
	v_fmac_f32_e32 v38, 0x3d64c772, v42
	v_fma_f32 v42, v70, s16, -v41
	v_fmac_f32_e32 v41, 0x3d64c772, v43
	v_fma_f32 v36, v76, s4, -v34
	v_mov_b32_e32 v43, v32
	v_mov_b32_e32 v76, v33
	v_fma_f32 v37, v39, s4, -v35
	s_mov_b32 s4, 0xbeae86e6
	v_fma_f32 v71, v69, s5, -v71
	v_fma_f32 v72, v70, s5, -v72
	v_fmac_f32_e32 v34, 0x3eae86e6, v75
	v_fmac_f32_e32 v43, 0xbf955555, v55
	;; [unrolled: 1-line block ×4, first 2 shown]
	v_fma_f32 v39, v75, s4, -v73
	v_fma_f32 v40, v40, s4, -v74
	v_add_f32_e32 v38, v38, v43
	v_add_f32_e32 v41, v41, v76
	;; [unrolled: 1-line block ×6, first 2 shown]
	v_fmac_f32_e32 v34, 0x3ee1c552, v57
	v_fmac_f32_e32 v35, 0x3ee1c552, v58
	;; [unrolled: 1-line block ×6, first 2 shown]
	v_add_f32_e32 v55, v37, v69
	v_sub_f32_e32 v56, v71, v36
	v_sub_f32_e32 v57, v70, v40
	v_add_f32_e32 v58, v39, v72
	v_sub_f32_e32 v42, v38, v35
	v_add_f32_e32 v43, v34, v41
	s_and_saveexec_b64 s[4:5], s[6:7]
	s_cbranch_execz .LBB0_15
; %bb.14:
	v_sub_f32_e32 v73, v69, v37
	v_sub_f32_e32 v37, v72, v39
	;; [unrolled: 1-line block ×3, first 2 shown]
	v_add_f32_e32 v38, v35, v38
	v_add_f32_e32 v74, v36, v71
	;; [unrolled: 1-line block ×3, first 2 shown]
	ds_write2_b64 v59, v[32:33], v[38:39] offset1:150
	v_add_u32_e32 v32, 0x800, v59
	ds_write2_b64 v32, v[36:37], v[73:74] offset0:44 offset1:194
	v_add_u32_e32 v32, 0x1000, v59
	ds_write2_b64 v32, v[55:56], v[57:58] offset0:88 offset1:238
	ds_write_b64 v59, v[42:43] offset:7200
.LBB0_15:
	s_or_b64 exec, exec, s[4:5]
	v_mov_b32_e32 v32, s17
	v_addc_co_u32_e64 v36, vcc, 0, v32, s[8:9]
	v_add_co_u32_e32 v32, vcc, 0x20d0, v44
	v_addc_co_u32_e32 v33, vcc, 0, v36, vcc
	v_add_co_u32_e32 v34, vcc, 0x2000, v44
	v_addc_co_u32_e32 v35, vcc, 0, v36, vcc
	s_waitcnt lgkmcnt(0)
	s_barrier
	global_load_dwordx2 v[39:40], v[34:35], off offset:208
	v_add_co_u32_e32 v34, vcc, 0x3000, v44
	v_addc_co_u32_e32 v35, vcc, 0, v36, vcc
	global_load_dwordx2 v[73:74], v[34:35], off offset:312
	global_load_dwordx2 v[75:76], v[34:35], off offset:1992
	;; [unrolled: 1-line block ×3, first 2 shown]
	ds_read2_b64 v[34:37], v59 offset1:210
	v_add_u32_e32 v38, 0x1000, v59
	s_waitcnt vmcnt(3) lgkmcnt(0)
	v_mul_f32_e32 v69, v35, v40
	v_mul_f32_e32 v41, v34, v40
	v_fma_f32 v40, v34, v39, -v69
	v_fmac_f32_e32 v41, v35, v39
	ds_write_b64 v59, v[40:41]
	ds_read2_b64 v[69:72], v38 offset0:13 offset1:223
	s_waitcnt vmcnt(0)
	v_mul_f32_e32 v34, v37, v78
	v_mul_f32_e32 v35, v36, v78
	v_fma_f32 v34, v36, v77, -v34
	v_fmac_f32_e32 v35, v37, v77
	ds_write_b64 v59, v[34:35] offset:1680
	s_waitcnt lgkmcnt(1)
	v_mul_f32_e32 v34, v70, v74
	v_mul_f32_e32 v35, v69, v74
	v_mul_f32_e32 v36, v72, v76
	v_mul_f32_e32 v37, v71, v76
	v_fma_f32 v34, v69, v73, -v34
	v_fmac_f32_e32 v35, v70, v73
	v_fma_f32 v36, v71, v75, -v36
	v_fmac_f32_e32 v37, v72, v75
	ds_write2_b64 v38, v[34:35], v[36:37] offset0:13 offset1:223
	s_and_saveexec_b64 s[4:5], s[0:1]
	s_cbranch_execz .LBB0_17
; %bb.16:
	global_load_dwordx2 v[34:35], v[32:33], off offset:3360
	v_add_co_u32_e32 v32, vcc, 0x1000, v32
	v_addc_co_u32_e32 v33, vcc, 0, v33, vcc
	global_load_dwordx2 v[32:33], v[32:33], off offset:3464
	ds_read_b64 v[36:37], v59 offset:3360
	ds_read_b64 v[39:40], v59 offset:7560
	s_waitcnt vmcnt(1) lgkmcnt(1)
	v_mul_f32_e32 v41, v37, v35
	v_mul_f32_e32 v70, v36, v35
	v_fma_f32 v69, v36, v34, -v41
	v_fmac_f32_e32 v70, v37, v34
	ds_write_b64 v59, v[69:70] offset:3360
	s_waitcnt vmcnt(0) lgkmcnt(1)
	v_mul_f32_e32 v35, v40, v33
	v_mul_f32_e32 v34, v39, v33
	v_fma_f32 v33, v39, v32, -v35
	v_fmac_f32_e32 v34, v40, v32
	ds_write_b64 v59, v[33:34] offset:7560
.LBB0_17:
	s_or_b64 exec, exec, s[4:5]
	s_waitcnt lgkmcnt(0)
	s_barrier
	ds_read2_b64 v[34:37], v59 offset1:210
	ds_read2_b64 v[38:41], v38 offset0:13 offset1:223
	s_and_saveexec_b64 s[4:5], s[0:1]
	s_cbranch_execz .LBB0_19
; %bb.18:
	ds_read_b64 v[55:56], v59 offset:3360
	ds_read_b64 v[57:58], v59 offset:7560
.LBB0_19:
	s_or_b64 exec, exec, s[4:5]
	s_waitcnt lgkmcnt(0)
	v_sub_f32_e32 v71, v34, v38
	v_sub_f32_e32 v72, v35, v39
	v_fma_f32 v69, v34, 2.0, -v71
	v_fma_f32 v70, v35, 2.0, -v72
	v_sub_f32_e32 v34, v36, v40
	v_sub_f32_e32 v35, v37, v41
	v_sub_f32_e32 v38, v55, v57
	v_sub_f32_e32 v39, v56, v58
	v_fma_f32 v32, v36, 2.0, -v34
	v_fma_f32 v33, v37, 2.0, -v35
	;; [unrolled: 1-line block ×4, first 2 shown]
	s_barrier
	ds_write_b128 v63, v[69:72]
	ds_write_b128 v64, v[32:35]
	s_and_saveexec_b64 s[4:5], s[0:1]
	s_cbranch_execz .LBB0_21
; %bb.20:
	ds_write_b128 v62, v[36:39]
.LBB0_21:
	s_or_b64 exec, exec, s[4:5]
	s_waitcnt lgkmcnt(0)
	s_barrier
	ds_read_b64 v[32:33], v59
	ds_read_b64 v[55:56], v59 offset:2800
	ds_read_b64 v[40:41], v59 offset:5600
	s_and_saveexec_b64 s[4:5], s[2:3]
	s_cbranch_execz .LBB0_23
; %bb.22:
	ds_read_b64 v[34:35], v59 offset:1680
	ds_read_b64 v[36:37], v59 offset:4480
	;; [unrolled: 1-line block ×3, first 2 shown]
.LBB0_23:
	s_or_b64 exec, exec, s[4:5]
	s_waitcnt lgkmcnt(0)
	v_mul_f32_e32 v63, v3, v41
	v_mul_f32_e32 v58, v1, v56
	v_fmac_f32_e32 v63, v2, v40
	v_mul_f32_e32 v40, v3, v40
	v_fmac_f32_e32 v58, v0, v55
	v_mul_f32_e32 v55, v1, v55
	v_fma_f32 v41, v2, v41, -v40
	v_mul_f32_e32 v40, v1, v37
	v_mul_f32_e32 v1, v1, v36
	v_fma_f32 v62, v0, v56, -v55
	v_fmac_f32_e32 v40, v0, v36
	v_fma_f32 v1, v0, v37, -v1
	v_mul_f32_e32 v0, v3, v39
	v_mul_f32_e32 v3, v3, v38
	v_fmac_f32_e32 v0, v2, v38
	v_fma_f32 v36, v2, v39, -v3
	v_add_f32_e32 v2, v32, v58
	v_add_f32_e32 v55, v2, v63
	;; [unrolled: 1-line block ×3, first 2 shown]
	v_fma_f32 v32, -0.5, v2, v32
	v_sub_f32_e32 v2, v62, v41
	v_mov_b32_e32 v57, v32
	v_fmac_f32_e32 v57, 0xbf5db3d7, v2
	v_fmac_f32_e32 v32, 0x3f5db3d7, v2
	v_add_f32_e32 v2, v33, v62
	v_add_f32_e32 v56, v2, v41
	;; [unrolled: 1-line block ×3, first 2 shown]
	v_fmac_f32_e32 v33, -0.5, v2
	v_sub_f32_e32 v2, v58, v63
	v_mov_b32_e32 v58, v33
	v_fmac_f32_e32 v58, 0x3f5db3d7, v2
	v_fmac_f32_e32 v33, 0xbf5db3d7, v2
	v_add_f32_e32 v2, v0, v40
	v_add_f32_e32 v3, v36, v1
	v_fma_f32 v37, -0.5, v2, v34
	v_fma_f32 v39, -0.5, v3, v35
	v_sub_f32_e32 v38, v1, v36
	v_mov_b32_e32 v2, v37
	v_sub_f32_e32 v41, v40, v0
	v_mov_b32_e32 v3, v39
	v_fmac_f32_e32 v2, 0x3f5db3d7, v38
	v_fmac_f32_e32 v3, 0xbf5db3d7, v41
	s_barrier
	ds_write2_b64 v65, v[55:56], v[57:58] offset1:2
	ds_write_b64 v65, v[32:33] offset:32
	s_and_saveexec_b64 s[4:5], s[2:3]
	s_cbranch_execz .LBB0_25
; %bb.24:
	v_add_f32_e32 v34, v34, v40
	v_add_f32_e32 v0, v0, v34
	v_mul_u32_u24_e32 v34, 6, v66
	v_mul_f32_e32 v32, 0x3f5db3d7, v38
	v_mul_f32_e32 v33, 0x3f5db3d7, v41
	v_add_f32_e32 v1, v35, v1
	v_or_b32_e32 v34, v34, v61
	v_add_f32_e32 v33, v33, v39
	v_sub_f32_e32 v32, v37, v32
	v_add_f32_e32 v1, v36, v1
	v_lshlrev_b32_e32 v34, 3, v34
	ds_write2_b64 v34, v[0:1], v[32:33] offset1:2
	ds_write_b64 v34, v[2:3] offset:32
.LBB0_25:
	s_or_b64 exec, exec, s[4:5]
	s_waitcnt lgkmcnt(0)
	s_barrier
	ds_read2_b64 v[32:35], v59 offset1:210
	v_add_u32_e32 v40, 0xc00, v59
	ds_read2_b64 v[36:39], v40 offset0:36 offset1:246
	ds_read_b64 v[0:1], v59 offset:6720
	s_waitcnt lgkmcnt(0)
	s_barrier
	v_mul_f32_e32 v41, v9, v35
	v_mul_f32_e32 v9, v9, v34
	v_fmac_f32_e32 v41, v8, v34
	v_fma_f32 v34, v8, v35, -v9
	v_mul_f32_e32 v8, v11, v36
	v_mul_f32_e32 v9, v11, v37
	v_fma_f32 v35, v10, v37, -v8
	v_mul_f32_e32 v11, v5, v39
	v_mul_f32_e32 v37, v7, v1
	v_fmac_f32_e32 v9, v10, v36
	v_fmac_f32_e32 v11, v4, v38
	v_fmac_f32_e32 v37, v6, v0
	v_mul_f32_e32 v0, v7, v0
	v_mul_f32_e32 v5, v5, v38
	v_fma_f32 v38, v6, v1, -v0
	v_add_f32_e32 v1, v9, v11
	v_fma_f32 v36, v4, v39, -v5
	v_fma_f32 v4, -0.5, v1, v32
	v_sub_f32_e32 v1, v34, v38
	v_mov_b32_e32 v6, v4
	v_fmac_f32_e32 v6, 0xbf737871, v1
	v_sub_f32_e32 v5, v35, v36
	v_sub_f32_e32 v7, v41, v9
	;; [unrolled: 1-line block ×3, first 2 shown]
	v_fmac_f32_e32 v4, 0x3f737871, v1
	v_fmac_f32_e32 v6, 0xbf167918, v5
	v_add_f32_e32 v7, v7, v8
	v_fmac_f32_e32 v4, 0x3f167918, v5
	v_fmac_f32_e32 v6, 0x3e9e377a, v7
	;; [unrolled: 1-line block ×3, first 2 shown]
	v_add_f32_e32 v7, v41, v37
	v_fma_f32 v8, -0.5, v7, v32
	v_mov_b32_e32 v10, v8
	v_add_f32_e32 v0, v32, v41
	v_fmac_f32_e32 v10, 0x3f737871, v5
	v_sub_f32_e32 v7, v9, v41
	v_sub_f32_e32 v32, v11, v37
	v_fmac_f32_e32 v8, 0xbf737871, v5
	v_add_f32_e32 v5, v35, v36
	v_add_f32_e32 v0, v0, v9
	v_fmac_f32_e32 v10, 0xbf167918, v1
	v_add_f32_e32 v7, v7, v32
	v_fmac_f32_e32 v8, 0x3f167918, v1
	v_fma_f32 v5, -0.5, v5, v33
	v_add_f32_e32 v0, v0, v11
	v_fmac_f32_e32 v10, 0x3e9e377a, v7
	v_fmac_f32_e32 v8, 0x3e9e377a, v7
	v_sub_f32_e32 v32, v41, v37
	v_mov_b32_e32 v7, v5
	v_add_f32_e32 v0, v0, v37
	v_fmac_f32_e32 v7, 0x3f737871, v32
	v_sub_f32_e32 v37, v9, v11
	v_sub_f32_e32 v9, v34, v35
	v_sub_f32_e32 v11, v38, v36
	v_fmac_f32_e32 v5, 0xbf737871, v32
	v_fmac_f32_e32 v7, 0x3f167918, v37
	v_add_f32_e32 v9, v9, v11
	v_fmac_f32_e32 v5, 0xbf167918, v37
	v_fmac_f32_e32 v7, 0x3e9e377a, v9
	;; [unrolled: 1-line block ×3, first 2 shown]
	v_add_f32_e32 v9, v34, v38
	v_fma_f32 v9, -0.5, v9, v33
	v_add_f32_e32 v1, v33, v34
	v_mov_b32_e32 v11, v9
	v_add_f32_e32 v1, v1, v35
	v_fmac_f32_e32 v11, 0xbf737871, v37
	v_sub_f32_e32 v33, v35, v34
	v_sub_f32_e32 v34, v36, v38
	v_fmac_f32_e32 v9, 0x3f737871, v37
	v_add_f32_e32 v1, v1, v36
	v_fmac_f32_e32 v11, 0x3f167918, v32
	v_add_f32_e32 v33, v33, v34
	;; [unrolled: 2-line block ×3, first 2 shown]
	v_fmac_f32_e32 v11, 0x3e9e377a, v33
	v_fmac_f32_e32 v9, 0x3e9e377a, v33
	ds_write2_b64 v67, v[0:1], v[6:7] offset1:6
	ds_write2_b64 v67, v[10:11], v[8:9] offset0:12 offset1:18
	ds_write_b64 v67, v[4:5] offset:192
	s_waitcnt lgkmcnt(0)
	s_barrier
	ds_read2_b64 v[8:11], v59 offset1:210
	ds_read2_b64 v[4:7], v40 offset0:36 offset1:246
	ds_read_b64 v[0:1], v59 offset:6720
	s_waitcnt lgkmcnt(0)
	s_barrier
	v_mul_f32_e32 v32, v17, v11
	v_fmac_f32_e32 v32, v16, v10
	v_mul_f32_e32 v10, v17, v10
	v_fma_f32 v16, v16, v11, -v10
	v_mul_f32_e32 v11, v19, v5
	v_fmac_f32_e32 v11, v18, v4
	v_mul_f32_e32 v4, v19, v4
	v_fma_f32 v17, v18, v5, -v4
	v_mul_f32_e32 v18, v13, v7
	v_mul_f32_e32 v4, v13, v6
	v_fmac_f32_e32 v18, v12, v6
	v_fma_f32 v12, v12, v7, -v4
	v_mul_f32_e32 v7, v15, v1
	v_fmac_f32_e32 v7, v14, v0
	v_mul_f32_e32 v0, v15, v0
	v_fma_f32 v13, v14, v1, -v0
	v_add_f32_e32 v0, v8, v32
	v_add_f32_e32 v0, v0, v11
	;; [unrolled: 1-line block ×5, first 2 shown]
	v_fma_f32 v0, -0.5, v0, v8
	v_sub_f32_e32 v1, v16, v13
	v_mov_b32_e32 v6, v0
	v_fmac_f32_e32 v6, 0xbf737871, v1
	v_sub_f32_e32 v5, v17, v12
	v_sub_f32_e32 v10, v32, v11
	;; [unrolled: 1-line block ×3, first 2 shown]
	v_fmac_f32_e32 v0, 0x3f737871, v1
	v_fmac_f32_e32 v6, 0xbf167918, v5
	v_add_f32_e32 v10, v10, v14
	v_fmac_f32_e32 v0, 0x3f167918, v5
	v_fmac_f32_e32 v6, 0x3e9e377a, v10
	;; [unrolled: 1-line block ×3, first 2 shown]
	v_add_f32_e32 v10, v32, v7
	v_fma_f32 v10, -0.5, v10, v8
	v_mov_b32_e32 v8, v10
	v_fmac_f32_e32 v8, 0x3f737871, v5
	v_fmac_f32_e32 v10, 0xbf737871, v5
	v_fmac_f32_e32 v8, 0xbf167918, v1
	v_fmac_f32_e32 v10, 0x3f167918, v1
	v_add_f32_e32 v1, v9, v16
	v_add_f32_e32 v1, v1, v17
	;; [unrolled: 1-line block ×3, first 2 shown]
	v_sub_f32_e32 v14, v11, v32
	v_sub_f32_e32 v15, v18, v7
	v_add_f32_e32 v5, v1, v13
	v_add_f32_e32 v1, v17, v12
	;; [unrolled: 1-line block ×3, first 2 shown]
	v_fma_f32 v1, -0.5, v1, v9
	v_fmac_f32_e32 v8, 0x3e9e377a, v14
	v_fmac_f32_e32 v10, 0x3e9e377a, v14
	v_sub_f32_e32 v14, v32, v7
	v_mov_b32_e32 v7, v1
	v_fmac_f32_e32 v7, 0x3f737871, v14
	v_sub_f32_e32 v15, v11, v18
	v_sub_f32_e32 v11, v16, v17
	;; [unrolled: 1-line block ×3, first 2 shown]
	v_fmac_f32_e32 v1, 0xbf737871, v14
	v_fmac_f32_e32 v7, 0x3f167918, v15
	v_add_f32_e32 v11, v11, v18
	v_fmac_f32_e32 v1, 0xbf167918, v15
	v_fmac_f32_e32 v7, 0x3e9e377a, v11
	;; [unrolled: 1-line block ×3, first 2 shown]
	v_add_f32_e32 v11, v16, v13
	v_fma_f32 v11, -0.5, v11, v9
	v_mov_b32_e32 v9, v11
	v_fmac_f32_e32 v9, 0xbf737871, v15
	v_sub_f32_e32 v16, v17, v16
	v_sub_f32_e32 v12, v12, v13
	v_fmac_f32_e32 v11, 0x3f737871, v15
	v_fmac_f32_e32 v9, 0x3f167918, v14
	v_add_f32_e32 v12, v16, v12
	v_fmac_f32_e32 v11, 0xbf167918, v14
	v_fmac_f32_e32 v9, 0x3e9e377a, v12
	;; [unrolled: 1-line block ×3, first 2 shown]
	ds_write2_b64 v68, v[4:5], v[6:7] offset1:30
	ds_write2_b64 v68, v[8:9], v[10:11] offset0:60 offset1:90
	ds_write_b64 v68, v[0:1] offset:960
	s_waitcnt lgkmcnt(0)
	s_barrier
	s_and_saveexec_b64 s[2:3], s[6:7]
	s_cbranch_execz .LBB0_27
; %bb.26:
	v_add_u32_e32 v0, 0x800, v59
	ds_read2_b64 v[8:11], v0 offset0:44 offset1:194
	v_add_u32_e32 v0, 0x1000, v59
	ds_read2_b64 v[4:7], v59 offset1:150
	ds_read2_b64 v[0:3], v0 offset0:88 offset1:238
	ds_read_b64 v[42:43], v59 offset:7200
.LBB0_27:
	s_or_b64 exec, exec, s[2:3]
	s_and_saveexec_b64 s[2:3], s[6:7]
	s_cbranch_execz .LBB0_29
; %bb.28:
	s_waitcnt lgkmcnt(2)
	v_mul_f32_e32 v12, v21, v7
	s_waitcnt lgkmcnt(1)
	v_mul_f32_e32 v15, v31, v1
	v_mul_f32_e32 v16, v29, v11
	v_fmac_f32_e32 v12, v20, v6
	s_waitcnt lgkmcnt(0)
	v_mul_f32_e32 v13, v27, v43
	v_fmac_f32_e32 v15, v30, v0
	v_fmac_f32_e32 v16, v28, v10
	v_mul_f32_e32 v27, v27, v42
	v_mul_f32_e32 v6, v21, v6
	;; [unrolled: 1-line block ×4, first 2 shown]
	v_fmac_f32_e32 v13, v26, v42
	v_fma_f32 v26, v26, v43, -v27
	v_fma_f32 v6, v20, v7, -v6
	;; [unrolled: 1-line block ×4, first 2 shown]
	v_add_f32_e32 v7, v26, v6
	v_add_f32_e32 v0, v10, v11
	v_sub_f32_e32 v1, v7, v0
	v_mul_f32_e32 v32, v25, v3
	v_mul_f32_e32 v20, 0x3f4a47b2, v1
	;; [unrolled: 1-line block ×4, first 2 shown]
	v_fmac_f32_e32 v32, v24, v2
	v_fma_f32 v2, v24, v3, -v1
	v_mul_f32_e32 v1, v23, v8
	v_fmac_f32_e32 v19, v22, v8
	v_fma_f32 v8, v22, v9, -v1
	v_add_f32_e32 v9, v2, v8
	v_sub_f32_e32 v1, v0, v9
	v_mov_b32_e32 v3, v20
	v_mul_f32_e32 v21, 0x3d64c772, v1
	v_fmac_f32_e32 v3, 0x3d64c772, v1
	v_add_f32_e32 v1, v9, v7
	v_add_f32_e32 v0, v0, v1
	;; [unrolled: 1-line block ×3, first 2 shown]
	v_mov_b32_e32 v22, v1
	v_sub_f32_e32 v14, v12, v13
	v_fmac_f32_e32 v22, 0xbf955555, v0
	v_add_f32_e32 v12, v13, v12
	v_add_f32_e32 v0, v16, v15
	v_sub_f32_e32 v5, v12, v0
	v_sub_f32_e32 v17, v15, v16
	v_mul_f32_e32 v13, 0x3f4a47b2, v5
	v_add_f32_e32 v15, v32, v19
	v_sub_f32_e32 v33, v19, v32
	v_sub_f32_e32 v5, v0, v15
	v_mov_b32_e32 v19, v13
	v_mul_f32_e32 v16, 0x3d64c772, v5
	v_fmac_f32_e32 v19, 0x3d64c772, v5
	v_add_f32_e32 v5, v15, v12
	v_add_f32_e32 v5, v0, v5
	;; [unrolled: 1-line block ×3, first 2 shown]
	v_mov_b32_e32 v24, v0
	v_fmac_f32_e32 v24, 0xbf955555, v5
	v_sub_f32_e32 v5, v11, v10
	v_sub_f32_e32 v8, v8, v2
	;; [unrolled: 1-line block ×4, first 2 shown]
	v_add_f32_e32 v17, v17, v33
	v_sub_f32_e32 v4, v6, v26
	v_sub_f32_e32 v2, v5, v8
	v_mul_f32_e32 v34, 0x3f08b237, v34
	v_add_f32_e32 v17, v17, v14
	v_mul_f32_e32 v10, 0x3f08b237, v2
	v_add_f32_e32 v2, v5, v8
	v_sub_f32_e32 v14, v33, v14
	v_sub_f32_e32 v8, v8, v4
	v_mov_b32_e32 v35, v34
	v_sub_f32_e32 v6, v4, v5
	v_add_f32_e32 v11, v2, v4
	v_mul_f32_e32 v5, 0xbf5ff5aa, v14
	s_mov_b32 s5, 0x3eae86e6
	v_sub_f32_e32 v7, v9, v7
	s_mov_b32 s6, 0xbf3bfb3b
	v_sub_f32_e32 v9, v15, v12
	v_mul_f32_e32 v4, 0xbf5ff5aa, v8
	v_fmac_f32_e32 v35, 0xbeae86e6, v18
	v_mov_b32_e32 v25, v10
	v_fma_f32 v18, v18, s5, -v5
	v_fma_f32 v12, v9, s6, -v13
	;; [unrolled: 1-line block ×3, first 2 shown]
	s_mov_b32 s5, 0x3f3bfb3b
	v_fmac_f32_e32 v25, 0xbeae86e6, v6
	s_mov_b32 s4, 0xbf5ff5aa
	v_fma_f32 v6, v7, s5, -v21
	v_add_f32_e32 v15, v6, v22
	v_fma_f32 v8, v8, s4, -v10
	v_fma_f32 v6, v9, s5, -v16
	v_fmac_f32_e32 v35, 0xbee1c552, v17
	v_add_f32_e32 v23, v3, v22
	v_add_f32_e32 v19, v19, v24
	v_fmac_f32_e32 v25, 0xbee1c552, v11
	v_fma_f32 v5, v7, s6, -v20
	v_add_f32_e32 v12, v12, v24
	v_fmac_f32_e32 v13, 0xbee1c552, v11
	v_fma_f32 v14, v14, s4, -v34
	v_fmac_f32_e32 v8, 0xbee1c552, v11
	v_add_f32_e32 v10, v6, v24
	v_fmac_f32_e32 v18, 0xbee1c552, v17
	v_add_f32_e32 v20, v5, v22
	v_sub_f32_e32 v4, v12, v13
	v_fmac_f32_e32 v14, 0xbee1c552, v17
	v_add_f32_e32 v6, v8, v10
	v_sub_f32_e32 v8, v10, v8
	v_add_f32_e32 v10, v13, v12
	v_sub_f32_e32 v13, v23, v35
	v_add_f32_e32 v12, v25, v19
	v_add_f32_e32 v9, v14, v15
	v_sub_f32_e32 v11, v20, v18
	ds_write2_b64 v59, v[0:1], v[12:13] offset1:150
	v_add_u32_e32 v0, 0x800, v59
	v_add_f32_e32 v5, v18, v20
	v_sub_f32_e32 v7, v15, v14
	ds_write2_b64 v0, v[10:11], v[8:9] offset0:44 offset1:194
	v_add_u32_e32 v0, 0x1000, v59
	v_add_f32_e32 v3, v35, v23
	v_sub_f32_e32 v2, v19, v25
	ds_write2_b64 v0, v[6:7], v[4:5] offset0:88 offset1:238
	ds_write_b64 v59, v[2:3] offset:7200
.LBB0_29:
	s_or_b64 exec, exec, s[2:3]
	s_waitcnt lgkmcnt(0)
	s_barrier
	ds_read2_b64 v[0:3], v59 offset1:210
	v_mad_u64_u32 v[8:9], s[2:3], s14, v46, 0
	s_mov_b32 s2, 0x859b8cec
	s_mov_b32 s3, 0x3f4f3526
	s_waitcnt lgkmcnt(0)
	v_mul_f32_e32 v4, v54, v1
	v_fmac_f32_e32 v4, v53, v0
	v_cvt_f64_f32_e32 v[4:5], v4
	v_mul_f32_e32 v0, v54, v0
	v_fma_f32 v0, v53, v1, -v0
	v_cvt_f64_f32_e32 v[0:1], v0
	v_mul_f64 v[4:5], v[4:5], s[2:3]
	v_mad_u64_u32 v[10:11], s[4:5], s12, v60, 0
	v_mov_b32_e32 v6, v9
	v_mad_u64_u32 v[6:7], s[4:5], s15, v46, v[6:7]
	v_mul_f64 v[0:1], v[0:1], s[2:3]
	s_mul_hi_u32 s7, s12, 0xfffffec5
	v_cvt_f32_f64_e32 v12, v[4:5]
	v_mov_b32_e32 v4, v11
	v_mad_u64_u32 v[14:15], s[4:5], s13, v60, v[4:5]
	v_add_u32_e32 v4, 0x1000, v59
	v_mov_b32_e32 v9, v6
	ds_read2_b64 v[4:7], v4 offset0:13 offset1:223
	v_cvt_f32_f64_e32 v13, v[0:1]
	v_lshlrev_b64 v[0:1], 3, v[8:9]
	v_mov_b32_e32 v11, v14
	v_mov_b32_e32 v14, s11
	s_waitcnt lgkmcnt(0)
	v_mul_f32_e32 v8, v52, v5
	v_fmac_f32_e32 v8, v51, v4
	v_mul_f32_e32 v4, v52, v4
	v_fma_f32 v4, v51, v5, -v4
	v_cvt_f64_f32_e32 v[8:9], v8
	v_cvt_f64_f32_e32 v[4:5], v4
	v_add_co_u32_e32 v15, vcc, s10, v0
	v_mul_f64 v[8:9], v[8:9], s[2:3]
	v_mul_f64 v[4:5], v[4:5], s[2:3]
	v_addc_co_u32_e32 v14, vcc, v14, v1, vcc
	v_lshlrev_b64 v[0:1], 3, v[10:11]
	s_mul_i32 s4, s13, 0x20d
	s_mul_hi_u32 s5, s12, 0x20d
	v_add_co_u32_e32 v0, vcc, v15, v0
	v_cvt_f32_f64_e32 v8, v[8:9]
	v_cvt_f32_f64_e32 v9, v[4:5]
	v_mul_f32_e32 v4, v50, v3
	v_fmac_f32_e32 v4, v49, v2
	v_mul_f32_e32 v2, v50, v2
	v_fma_f32 v2, v49, v3, -v2
	v_cvt_f64_f32_e32 v[4:5], v4
	v_cvt_f64_f32_e32 v[2:3], v2
	s_add_i32 s5, s5, s4
	s_mul_i32 s4, s12, 0x20d
	v_mul_f64 v[4:5], v[4:5], s[2:3]
	v_mul_f64 v[2:3], v[2:3], s[2:3]
	v_addc_co_u32_e32 v1, vcc, v14, v1, vcc
	s_lshl_b64 s[4:5], s[4:5], 3
	s_mul_i32 s6, s13, 0xfffffec5
	s_sub_i32 s7, s7, s12
	global_store_dwordx2 v[0:1], v[12:13], off
	v_cvt_f32_f64_e32 v4, v[4:5]
	v_cvt_f32_f64_e32 v5, v[2:3]
	v_mul_f32_e32 v2, v48, v7
	v_fmac_f32_e32 v2, v47, v6
	v_mul_f32_e32 v6, v48, v6
	v_fma_f32 v6, v47, v7, -v6
	v_cvt_f64_f32_e32 v[2:3], v2
	v_cvt_f64_f32_e32 v[6:7], v6
	v_mov_b32_e32 v10, s5
	v_add_co_u32_e32 v0, vcc, s4, v0
	v_mul_f64 v[2:3], v[2:3], s[2:3]
	v_mul_f64 v[6:7], v[6:7], s[2:3]
	s_add_i32 s7, s7, s6
	s_mul_i32 s6, s12, 0xfffffec5
	v_addc_co_u32_e32 v1, vcc, v1, v10, vcc
	s_lshl_b64 s[6:7], s[6:7], 3
	global_store_dwordx2 v[0:1], v[8:9], off
	v_mov_b32_e32 v8, s7
	v_add_co_u32_e32 v0, vcc, s6, v0
	v_cvt_f32_f64_e32 v2, v[2:3]
	v_cvt_f32_f64_e32 v3, v[6:7]
	v_addc_co_u32_e32 v1, vcc, v1, v8, vcc
	global_store_dwordx2 v[0:1], v[4:5], off
	v_add_co_u32_e32 v0, vcc, s4, v0
	s_movk_i32 s8, 0x1000
	v_addc_co_u32_e32 v1, vcc, v1, v10, vcc
	global_store_dwordx2 v[0:1], v[2:3], off
	s_and_b64 exec, exec, s[0:1]
	s_cbranch_execz .LBB0_31
; %bb.30:
	global_load_dwordx2 v[2:3], v[44:45], off offset:3360
	v_add_co_u32_e32 v4, vcc, s8, v44
	v_addc_co_u32_e32 v5, vcc, 0, v45, vcc
	global_load_dwordx2 v[4:5], v[4:5], off offset:3464
	ds_read_b64 v[6:7], v59 offset:3360
	ds_read_b64 v[8:9], v59 offset:7560
	v_add_co_u32_e32 v0, vcc, s6, v0
	s_waitcnt vmcnt(1) lgkmcnt(1)
	v_mul_f32_e32 v10, v7, v3
	v_mul_f32_e32 v3, v6, v3
	v_fmac_f32_e32 v10, v6, v2
	v_fma_f32 v6, v2, v7, -v3
	v_cvt_f64_f32_e32 v[2:3], v10
	s_waitcnt vmcnt(0) lgkmcnt(0)
	v_mul_f32_e32 v7, v9, v5
	v_mul_f32_e32 v11, v8, v5
	v_cvt_f64_f32_e32 v[5:6], v6
	v_fmac_f32_e32 v7, v8, v4
	v_fma_f32 v8, v4, v9, -v11
	v_cvt_f64_f32_e32 v[8:9], v8
	v_mul_f64 v[4:5], v[5:6], s[2:3]
	v_cvt_f64_f32_e32 v[6:7], v7
	v_mul_f64 v[2:3], v[2:3], s[2:3]
	v_mul_f64 v[8:9], v[8:9], s[2:3]
	v_mov_b32_e32 v10, s7
	v_mul_f64 v[6:7], v[6:7], s[2:3]
	v_addc_co_u32_e32 v1, vcc, v1, v10, vcc
	v_mov_b32_e32 v11, s5
	v_cvt_f32_f64_e32 v2, v[2:3]
	v_cvt_f32_f64_e32 v3, v[4:5]
	;; [unrolled: 1-line block ×4, first 2 shown]
	global_store_dwordx2 v[0:1], v[2:3], off
	v_add_co_u32_e32 v0, vcc, s4, v0
	v_addc_co_u32_e32 v1, vcc, v1, v11, vcc
	global_store_dwordx2 v[0:1], v[4:5], off
.LBB0_31:
	s_endpgm
	.section	.rodata,"a",@progbits
	.p2align	6, 0x0
	.amdhsa_kernel bluestein_single_back_len1050_dim1_sp_op_CI_CI
		.amdhsa_group_segment_fixed_size 8400
		.amdhsa_private_segment_fixed_size 0
		.amdhsa_kernarg_size 104
		.amdhsa_user_sgpr_count 6
		.amdhsa_user_sgpr_private_segment_buffer 1
		.amdhsa_user_sgpr_dispatch_ptr 0
		.amdhsa_user_sgpr_queue_ptr 0
		.amdhsa_user_sgpr_kernarg_segment_ptr 1
		.amdhsa_user_sgpr_dispatch_id 0
		.amdhsa_user_sgpr_flat_scratch_init 0
		.amdhsa_user_sgpr_private_segment_size 0
		.amdhsa_uses_dynamic_stack 0
		.amdhsa_system_sgpr_private_segment_wavefront_offset 0
		.amdhsa_system_sgpr_workgroup_id_x 1
		.amdhsa_system_sgpr_workgroup_id_y 0
		.amdhsa_system_sgpr_workgroup_id_z 0
		.amdhsa_system_sgpr_workgroup_info 0
		.amdhsa_system_vgpr_workitem_id 0
		.amdhsa_next_free_vgpr 79
		.amdhsa_next_free_sgpr 20
		.amdhsa_reserve_vcc 1
		.amdhsa_reserve_flat_scratch 0
		.amdhsa_float_round_mode_32 0
		.amdhsa_float_round_mode_16_64 0
		.amdhsa_float_denorm_mode_32 3
		.amdhsa_float_denorm_mode_16_64 3
		.amdhsa_dx10_clamp 1
		.amdhsa_ieee_mode 1
		.amdhsa_fp16_overflow 0
		.amdhsa_exception_fp_ieee_invalid_op 0
		.amdhsa_exception_fp_denorm_src 0
		.amdhsa_exception_fp_ieee_div_zero 0
		.amdhsa_exception_fp_ieee_overflow 0
		.amdhsa_exception_fp_ieee_underflow 0
		.amdhsa_exception_fp_ieee_inexact 0
		.amdhsa_exception_int_div_zero 0
	.end_amdhsa_kernel
	.text
.Lfunc_end0:
	.size	bluestein_single_back_len1050_dim1_sp_op_CI_CI, .Lfunc_end0-bluestein_single_back_len1050_dim1_sp_op_CI_CI
                                        ; -- End function
	.section	.AMDGPU.csdata,"",@progbits
; Kernel info:
; codeLenInByte = 6604
; NumSgprs: 24
; NumVgprs: 79
; ScratchSize: 0
; MemoryBound: 0
; FloatMode: 240
; IeeeMode: 1
; LDSByteSize: 8400 bytes/workgroup (compile time only)
; SGPRBlocks: 2
; VGPRBlocks: 19
; NumSGPRsForWavesPerEU: 24
; NumVGPRsForWavesPerEU: 79
; Occupancy: 3
; WaveLimiterHint : 1
; COMPUTE_PGM_RSRC2:SCRATCH_EN: 0
; COMPUTE_PGM_RSRC2:USER_SGPR: 6
; COMPUTE_PGM_RSRC2:TRAP_HANDLER: 0
; COMPUTE_PGM_RSRC2:TGID_X_EN: 1
; COMPUTE_PGM_RSRC2:TGID_Y_EN: 0
; COMPUTE_PGM_RSRC2:TGID_Z_EN: 0
; COMPUTE_PGM_RSRC2:TIDIG_COMP_CNT: 0
	.type	__hip_cuid_605629f69e7d59e7,@object ; @__hip_cuid_605629f69e7d59e7
	.section	.bss,"aw",@nobits
	.globl	__hip_cuid_605629f69e7d59e7
__hip_cuid_605629f69e7d59e7:
	.byte	0                               ; 0x0
	.size	__hip_cuid_605629f69e7d59e7, 1

	.ident	"AMD clang version 19.0.0git (https://github.com/RadeonOpenCompute/llvm-project roc-6.4.0 25133 c7fe45cf4b819c5991fe208aaa96edf142730f1d)"
	.section	".note.GNU-stack","",@progbits
	.addrsig
	.addrsig_sym __hip_cuid_605629f69e7d59e7
	.amdgpu_metadata
---
amdhsa.kernels:
  - .args:
      - .actual_access:  read_only
        .address_space:  global
        .offset:         0
        .size:           8
        .value_kind:     global_buffer
      - .actual_access:  read_only
        .address_space:  global
        .offset:         8
        .size:           8
        .value_kind:     global_buffer
      - .actual_access:  read_only
        .address_space:  global
        .offset:         16
        .size:           8
        .value_kind:     global_buffer
      - .actual_access:  read_only
        .address_space:  global
        .offset:         24
        .size:           8
        .value_kind:     global_buffer
      - .actual_access:  read_only
        .address_space:  global
        .offset:         32
        .size:           8
        .value_kind:     global_buffer
      - .offset:         40
        .size:           8
        .value_kind:     by_value
      - .address_space:  global
        .offset:         48
        .size:           8
        .value_kind:     global_buffer
      - .address_space:  global
        .offset:         56
        .size:           8
        .value_kind:     global_buffer
      - .address_space:  global
        .offset:         64
        .size:           8
        .value_kind:     global_buffer
      - .address_space:  global
        .offset:         72
        .size:           8
        .value_kind:     global_buffer
      - .offset:         80
        .size:           4
        .value_kind:     by_value
      - .address_space:  global
        .offset:         88
        .size:           8
        .value_kind:     global_buffer
      - .address_space:  global
        .offset:         96
        .size:           8
        .value_kind:     global_buffer
    .group_segment_fixed_size: 8400
    .kernarg_segment_align: 8
    .kernarg_segment_size: 104
    .language:       OpenCL C
    .language_version:
      - 2
      - 0
    .max_flat_workgroup_size: 210
    .name:           bluestein_single_back_len1050_dim1_sp_op_CI_CI
    .private_segment_fixed_size: 0
    .sgpr_count:     24
    .sgpr_spill_count: 0
    .symbol:         bluestein_single_back_len1050_dim1_sp_op_CI_CI.kd
    .uniform_work_group_size: 1
    .uses_dynamic_stack: false
    .vgpr_count:     79
    .vgpr_spill_count: 0
    .wavefront_size: 64
amdhsa.target:   amdgcn-amd-amdhsa--gfx906
amdhsa.version:
  - 1
  - 2
...

	.end_amdgpu_metadata
